;; amdgpu-corpus repo=ROCm/rocFFT kind=compiled arch=gfx1030 opt=O3
	.text
	.amdgcn_target "amdgcn-amd-amdhsa--gfx1030"
	.amdhsa_code_object_version 6
	.protected	fft_rtc_fwd_len96_factors_2_6_8_wgs_64_tpt_8_halfLds_dim1_sp_op_CI_CI_unitstride_sbrr_R2C_dirReg ; -- Begin function fft_rtc_fwd_len96_factors_2_6_8_wgs_64_tpt_8_halfLds_dim1_sp_op_CI_CI_unitstride_sbrr_R2C_dirReg
	.globl	fft_rtc_fwd_len96_factors_2_6_8_wgs_64_tpt_8_halfLds_dim1_sp_op_CI_CI_unitstride_sbrr_R2C_dirReg
	.p2align	8
	.type	fft_rtc_fwd_len96_factors_2_6_8_wgs_64_tpt_8_halfLds_dim1_sp_op_CI_CI_unitstride_sbrr_R2C_dirReg,@function
fft_rtc_fwd_len96_factors_2_6_8_wgs_64_tpt_8_halfLds_dim1_sp_op_CI_CI_unitstride_sbrr_R2C_dirReg: ; @fft_rtc_fwd_len96_factors_2_6_8_wgs_64_tpt_8_halfLds_dim1_sp_op_CI_CI_unitstride_sbrr_R2C_dirReg
; %bb.0:
	s_clause 0x1
	s_load_dwordx2 s[0:1], s[4:5], 0x20
	s_load_dwordx2 s[8:9], s[4:5], 0x0
	v_lshrrev_b32_e32 v1, 3, v0
	v_mov_b32_e32 v26, 0
	v_and_b32_e32 v24, 7, v0
                                        ; implicit-def: $vgpr34
                                        ; implicit-def: $vgpr32
                                        ; implicit-def: $vgpr30
                                        ; implicit-def: $vgpr28
	v_lshl_or_b32 v25, s6, 3, v1
	s_waitcnt lgkmcnt(0)
	v_cmp_gt_u64_e32 vcc_lo, s[0:1], v[25:26]
	v_cmp_le_u64_e64 s0, s[0:1], v[25:26]
                                        ; implicit-def: $vgpr26
	s_and_saveexec_b32 s1, s0
	s_xor_b32 s0, exec_lo, s1
; %bb.1:
	v_and_b32_e32 v34, 7, v0
                                        ; implicit-def: $vgpr24
	v_or_b32_e32 v26, 8, v34
	v_or_b32_e32 v32, 16, v34
	;; [unrolled: 1-line block ×4, first 2 shown]
; %bb.2:
	s_or_saveexec_b32 s1, s0
	s_load_dwordx2 s[2:3], s[4:5], 0x18
	v_mul_u32_u24_e32 v1, 0x61, v1
	v_lshlrev_b32_e32 v1, 3, v1
	s_xor_b32 exec_lo, exec_lo, s1
	s_cbranch_execz .LBB0_4
; %bb.3:
	s_clause 0x1
	s_load_dwordx2 s[6:7], s[4:5], 0x10
	s_load_dwordx2 s[10:11], s[4:5], 0x50
	v_lshlrev_b32_e32 v27, 3, v24
	v_or_b32_e32 v26, 8, v24
	v_or_b32_e32 v32, 16, v24
	;; [unrolled: 1-line block ×4, first 2 shown]
	v_mov_b32_e32 v34, v24
	s_waitcnt lgkmcnt(0)
	s_load_dwordx2 s[6:7], s[6:7], 0x8
	s_waitcnt lgkmcnt(0)
	v_mad_u64_u32 v[2:3], null, s6, v25, 0
	v_mad_u64_u32 v[3:4], null, s7, v25, v[3:4]
	v_lshlrev_b64 v[2:3], 3, v[2:3]
	v_add_co_u32 v2, s0, s10, v2
	v_add_co_ci_u32_e64 v3, s0, s11, v3, s0
	v_add_co_u32 v2, s0, v2, v27
	v_add_co_ci_u32_e64 v3, s0, 0, v3, s0
	v_add3_u32 v27, 0, v1, v27
	s_clause 0xb
	global_load_dwordx2 v[4:5], v[2:3], off
	global_load_dwordx2 v[6:7], v[2:3], off offset:64
	global_load_dwordx2 v[8:9], v[2:3], off offset:128
	;; [unrolled: 1-line block ×11, first 2 shown]
	s_waitcnt vmcnt(10)
	ds_write2_b64 v27, v[4:5], v[6:7] offset1:8
	s_waitcnt vmcnt(8)
	ds_write2_b64 v27, v[8:9], v[10:11] offset0:16 offset1:24
	s_waitcnt vmcnt(6)
	ds_write2_b64 v27, v[12:13], v[14:15] offset0:32 offset1:40
	;; [unrolled: 2-line block ×5, first 2 shown]
.LBB0_4:
	s_or_b32 exec_lo, exec_lo, s1
	v_lshlrev_b32_e32 v27, 3, v34
	v_add_nc_u32_e32 v43, 0, v1
	s_waitcnt lgkmcnt(0)
	s_load_dwordx2 s[2:3], s[2:3], 0x8
	s_waitcnt lgkmcnt(0)
	s_barrier
	v_add3_u32 v29, 0, v27, v1
	v_add_nc_u32_e32 v44, v43, v27
	buffer_gl0_inv
	v_and_b32_e32 v33, 1, v0
	v_lshl_add_u32 v0, v26, 4, v43
	ds_read2_b64 v[1:4], v29 offset0:40 offset1:48
	ds_read_b64 v[21:22], v44
	ds_read2_b64 v[5:8], v29 offset0:8 offset1:16
	ds_read2_b64 v[9:12], v29 offset0:56 offset1:64
	;; [unrolled: 1-line block ×4, first 2 shown]
	ds_read_b64 v[35:36], v29 offset:704
	v_add_nc_u32_e32 v23, v29, v27
	s_waitcnt lgkmcnt(0)
	s_barrier
	buffer_gl0_inv
	v_lshl_add_u32 v37, v30, 4, v43
	v_lshl_add_u32 v31, v28, 4, v43
	;; [unrolled: 1-line block ×3, first 2 shown]
	v_cmp_gt_u32_e64 s0, 4, v34
	v_sub_f32_e32 v3, v21, v3
	v_sub_f32_e32 v4, v22, v4
	;; [unrolled: 1-line block ×5, first 2 shown]
	v_fma_f32 v21, v21, 2.0, -v3
	v_fma_f32 v22, v22, 2.0, -v4
	v_sub_f32_e32 v12, v8, v12
	v_sub_f32_e32 v17, v13, v17
	;; [unrolled: 1-line block ×7, first 2 shown]
	v_fma_f32 v5, v5, 2.0, -v9
	v_fma_f32 v6, v6, 2.0, -v10
	ds_write2_b64 v23, v[21:22], v[3:4] offset1:1
	v_mul_u32_u24_e32 v3, 5, v33
	v_fma_f32 v7, v7, 2.0, -v11
	v_fma_f32 v8, v8, 2.0, -v12
	v_lshl_add_u32 v22, v32, 4, v43
	v_fma_f32 v13, v13, 2.0, -v17
	v_fma_f32 v14, v14, 2.0, -v18
	;; [unrolled: 1-line block ×6, first 2 shown]
	ds_write2_b64 v0, v[5:6], v[9:10] offset1:1
	ds_write2_b64 v22, v[7:8], v[11:12] offset1:1
	;; [unrolled: 1-line block ×4, first 2 shown]
	v_lshlrev_b32_e32 v8, 3, v3
	v_lshrrev_b32_e32 v10, 1, v34
	v_lshrrev_b32_e32 v11, 1, v26
	ds_write2_b64 v23, v[1:2], v[35:36] offset0:80 offset1:81
	s_waitcnt lgkmcnt(0)
	s_barrier
	buffer_gl0_inv
	s_clause 0x2
	global_load_dwordx4 v[0:3], v8, s[8:9]
	global_load_dwordx4 v[4:7], v8, s[8:9] offset:16
	global_load_dwordx2 v[20:21], v8, s[8:9] offset:32
	v_lshlrev_b32_e32 v8, 3, v32
	v_lshlrev_b32_e32 v9, 3, v28
	v_mul_u32_u24_e32 v13, 12, v10
	v_lshlrev_b32_e32 v12, 3, v30
	v_mul_lo_u32 v16, v11, 12
	v_sub_nc_u32_e32 v8, v22, v8
	v_sub_nc_u32_e32 v31, v31, v9
	v_or_b32_e32 v17, v13, v33
	v_sub_nc_u32_e32 v48, v37, v12
	ds_read_b64 v[22:23], v8
	ds_read_b64 v[35:36], v31
	ds_read2_b64 v[8:11], v29 offset0:40 offset1:48
	ds_read2_b64 v[12:15], v29 offset0:56 offset1:64
	ds_read_b64 v[37:38], v48
	v_or_b32_e32 v33, v16, v33
	v_lshl_add_u32 v49, v17, 3, v43
	ds_read2_b64 v[16:19], v29 offset0:72 offset1:80
	ds_read_b64 v[39:40], v44
	ds_read_b64 v[41:42], v45
	ds_read_b64 v[46:47], v29 offset:704
	s_waitcnt vmcnt(0) lgkmcnt(0)
	v_lshl_add_u32 v33, v33, 3, v43
	s_barrier
	buffer_gl0_inv
	v_mul_f32_e32 v50, v1, v23
	v_mul_f32_e32 v51, v1, v22
	;; [unrolled: 1-line block ×20, first 2 shown]
	v_fma_f32 v22, v0, v22, -v50
	v_fmac_f32_e32 v51, v0, v23
	v_fma_f32 v23, v2, v35, -v52
	v_fmac_f32_e32 v53, v2, v36
	;; [unrolled: 2-line block ×10, first 2 shown]
	v_add_f32_e32 v11, v23, v2
	v_add_f32_e32 v14, v53, v59
	;; [unrolled: 1-line block ×8, first 2 shown]
	v_sub_f32_e32 v50, v5, v21
	v_add_f32_e32 v52, v58, v5
	v_add_f32_e32 v5, v5, v21
	v_sub_f32_e32 v12, v53, v59
	v_sub_f32_e32 v15, v23, v2
	v_add_f32_e32 v16, v22, v1
	v_sub_f32_e32 v18, v55, v61
	v_sub_f32_e32 v1, v1, v8
	v_add_f32_e32 v23, v41, v0
	v_sub_f32_e32 v37, v3, v7
	v_add_f32_e32 v38, v42, v3
	v_add_f32_e32 v3, v3, v7
	;; [unrolled: 1-line block ×3, first 2 shown]
	v_fma_f32 v39, -0.5, v11, v39
	v_fmac_f32_e32 v40, -0.5, v14
	v_fmac_f32_e32 v22, -0.5, v17
	;; [unrolled: 1-line block ×3, first 2 shown]
	v_add_f32_e32 v36, v0, v4
	v_sub_f32_e32 v9, v9, v6
	v_add_f32_e32 v2, v10, v2
	v_add_f32_e32 v10, v13, v59
	;; [unrolled: 1-line block ×3, first 2 shown]
	v_fmac_f32_e32 v35, -0.5, v47
	v_fmac_f32_e32 v58, -0.5, v5
	v_sub_f32_e32 v0, v0, v4
	v_add_f32_e32 v8, v16, v8
	v_add_f32_e32 v13, v23, v4
	v_fmac_f32_e32 v42, -0.5, v3
	v_add_f32_e32 v3, v46, v6
	v_fmamk_f32 v17, v12, 0x3f5db3d7, v39
	v_fmac_f32_e32 v39, 0xbf5db3d7, v12
	v_fmamk_f32 v19, v15, 0xbf5db3d7, v40
	v_fmac_f32_e32 v40, 0x3f5db3d7, v15
	v_fmamk_f32 v12, v18, 0x3f5db3d7, v22
	v_fmamk_f32 v15, v1, 0xbf5db3d7, v51
	v_add_f32_e32 v14, v38, v7
	v_add_f32_e32 v16, v52, v21
	v_fmac_f32_e32 v22, 0xbf5db3d7, v18
	v_fmac_f32_e32 v51, 0x3f5db3d7, v1
	v_fma_f32 v20, -0.5, v36, v41
	v_add_f32_e32 v5, v10, v11
	v_sub_f32_e32 v7, v10, v11
	v_fmamk_f32 v10, v50, 0x3f5db3d7, v35
	v_fmamk_f32 v11, v9, 0xbf5db3d7, v58
	v_fmac_f32_e32 v35, 0xbf5db3d7, v50
	v_fmac_f32_e32 v58, 0x3f5db3d7, v9
	v_add_f32_e32 v4, v2, v8
	v_sub_f32_e32 v6, v2, v8
	v_fmamk_f32 v21, v0, 0xbf5db3d7, v42
	v_fmac_f32_e32 v42, 0x3f5db3d7, v0
	v_add_f32_e32 v8, v13, v3
	v_sub_f32_e32 v0, v13, v3
	v_mul_f32_e32 v3, 0x3f5db3d7, v15
	v_mul_f32_e32 v18, 0xbf5db3d7, v12
	v_add_f32_e32 v9, v14, v16
	v_sub_f32_e32 v1, v14, v16
	v_mul_f32_e32 v16, -0.5, v22
	v_mul_f32_e32 v23, -0.5, v51
	v_fmamk_f32 v2, v37, 0x3f5db3d7, v20
	v_fmac_f32_e32 v20, 0xbf5db3d7, v37
	v_mul_f32_e32 v37, 0x3f5db3d7, v11
	v_mul_f32_e32 v41, 0xbf5db3d7, v10
	v_mul_f32_e32 v38, -0.5, v35
	v_mul_f32_e32 v46, -0.5, v58
	v_fmac_f32_e32 v3, 0.5, v12
	v_fmac_f32_e32 v18, 0.5, v15
	v_fmac_f32_e32 v16, 0x3f5db3d7, v51
	v_fmac_f32_e32 v23, 0xbf5db3d7, v22
	v_fmac_f32_e32 v37, 0.5, v10
	v_fmac_f32_e32 v41, 0.5, v11
	v_fmac_f32_e32 v38, 0x3f5db3d7, v58
	v_fmac_f32_e32 v46, 0xbf5db3d7, v35
	v_add_f32_e32 v10, v17, v3
	v_add_f32_e32 v11, v19, v18
	;; [unrolled: 1-line block ×4, first 2 shown]
	v_sub_f32_e32 v14, v17, v3
	v_sub_f32_e32 v16, v39, v16
	;; [unrolled: 1-line block ×4, first 2 shown]
	v_add_f32_e32 v18, v2, v37
	v_add_f32_e32 v19, v21, v41
	;; [unrolled: 1-line block ×4, first 2 shown]
	v_sub_f32_e32 v37, v2, v37
	v_sub_f32_e32 v2, v20, v38
	;; [unrolled: 1-line block ×4, first 2 shown]
	ds_write2_b64 v49, v[4:5], v[10:11] offset1:2
	ds_write2_b64 v49, v[12:13], v[6:7] offset0:4 offset1:6
	ds_write2_b64 v49, v[14:15], v[16:17] offset0:8 offset1:10
	ds_write2_b64 v33, v[8:9], v[18:19] offset1:2
	ds_write2_b64 v33, v[35:36], v[0:1] offset0:4 offset1:6
	ds_write2_b64 v33, v[37:38], v[2:3] offset0:8 offset1:10
	s_waitcnt lgkmcnt(0)
	s_barrier
	buffer_gl0_inv
	ds_read2_b64 v[12:15], v29 offset0:12 offset1:36
	ds_read_b64 v[39:40], v44
	ds_read_b64 v[41:42], v48
	ds_read2_b64 v[20:23], v29 offset0:48 offset1:60
	ds_read2_b64 v[16:19], v29 offset0:72 offset1:84
                                        ; implicit-def: $vgpr5
                                        ; implicit-def: $vgpr9
	s_and_saveexec_b32 s1, s0
	s_cbranch_execz .LBB0_6
; %bb.5:
	ds_read2_b64 v[0:3], v29 offset0:20 offset1:44
	ds_read_b64 v[35:36], v45
	ds_read_b64 v[37:38], v31
	ds_read2_b64 v[4:7], v29 offset0:56 offset1:68
	ds_read2_b64 v[8:11], v29 offset0:80 offset1:92
.LBB0_6:
	s_or_b32 exec_lo, exec_lo, s1
	v_mul_u32_u24_e32 v33, 7, v34
	v_cmp_gt_u32_e64 s1, 12, v26
	v_lshlrev_b32_e32 v33, 3, v33
	s_clause 0x3
	global_load_dwordx4 v[46:49], v33, s[8:9] offset:80
	global_load_dwordx4 v[50:53], v33, s[8:9] offset:96
	;; [unrolled: 1-line block ×3, first 2 shown]
	global_load_dwordx2 v[58:59], v33, s[8:9] offset:128
	s_waitcnt vmcnt(0) lgkmcnt(0)
	s_barrier
	buffer_gl0_inv
	v_mul_f32_e32 v33, v47, v13
	v_mul_f32_e32 v47, v47, v12
	;; [unrolled: 1-line block ×14, first 2 shown]
	v_fma_f32 v12, v46, v12, -v33
	v_fmac_f32_e32 v47, v46, v13
	v_fma_f32 v13, v48, v41, -v60
	v_fmac_f32_e32 v49, v48, v42
	;; [unrolled: 2-line block ×7, first 2 shown]
	v_sub_f32_e32 v15, v39, v15
	v_sub_f32_e32 v18, v40, v53
	;; [unrolled: 1-line block ×8, first 2 shown]
	v_fma_f32 v23, v39, 2.0, -v15
	v_fma_f32 v33, v40, 2.0, -v18
	;; [unrolled: 1-line block ×8, first 2 shown]
	v_sub_f32_e32 v42, v15, v19
	v_add_f32_e32 v46, v18, v16
	v_sub_f32_e32 v19, v20, v22
	v_add_f32_e32 v22, v21, v17
	v_sub_f32_e32 v47, v23, v13
	v_sub_f32_e32 v39, v33, v39
	v_fma_f32 v48, v15, 2.0, -v42
	v_fma_f32 v49, v18, 2.0, -v46
	v_sub_f32_e32 v17, v40, v12
	v_sub_f32_e32 v16, v41, v14
	v_fma_f32 v20, v20, 2.0, -v19
	v_fma_f32 v21, v21, 2.0, -v22
	v_fmamk_f32 v12, v19, 0x3f3504f3, v42
	v_fmamk_f32 v13, v22, 0x3f3504f3, v46
	v_fma_f32 v50, v23, 2.0, -v47
	v_fma_f32 v33, v33, 2.0, -v39
	;; [unrolled: 1-line block ×4, first 2 shown]
	v_fmamk_f32 v14, v20, 0xbf3504f3, v48
	v_fmamk_f32 v15, v21, 0xbf3504f3, v49
	v_sub_f32_e32 v16, v47, v16
	v_add_f32_e32 v17, v39, v17
	v_fmac_f32_e32 v12, 0xbf3504f3, v22
	v_fmac_f32_e32 v13, 0x3f3504f3, v19
	v_sub_f32_e32 v18, v50, v18
	v_sub_f32_e32 v19, v33, v23
	v_fmac_f32_e32 v14, 0xbf3504f3, v21
	v_fmac_f32_e32 v15, 0x3f3504f3, v20
	v_fma_f32 v20, v47, 2.0, -v16
	v_fma_f32 v21, v39, 2.0, -v17
	;; [unrolled: 1-line block ×8, first 2 shown]
	ds_write2_b64 v29, v[20:21], v[22:23] offset0:24 offset1:36
	ds_write2_b64 v29, v[18:19], v[14:15] offset0:48 offset1:60
	ds_write2_b64 v29, v[39:40], v[41:42] offset1:12
	ds_write2_b64 v29, v[16:17], v[12:13] offset0:72 offset1:84
	s_and_saveexec_b32 s6, s0
	s_cbranch_execz .LBB0_8
; %bb.7:
	v_add_nc_u32_e32 v12, -4, v34
	v_mov_b32_e32 v13, 0
	v_cndmask_b32_e64 v12, v12, v26, s1
	v_mul_i32_i24_e32 v12, 7, v12
	v_lshlrev_b64 v[12:13], 3, v[12:13]
	v_add_co_u32 v39, s0, s8, v12
	v_add_co_ci_u32_e64 v40, s0, s9, v13, s0
	s_clause 0x3
	global_load_dwordx4 v[12:15], v[39:40], off offset:80
	global_load_dwordx4 v[16:19], v[39:40], off offset:112
	;; [unrolled: 1-line block ×3, first 2 shown]
	global_load_dwordx2 v[39:40], v[39:40], off offset:128
	s_waitcnt vmcnt(3)
	v_mul_f32_e32 v33, v38, v15
	s_waitcnt vmcnt(2)
	v_mul_f32_e32 v41, v9, v19
	;; [unrolled: 2-line block ×3, first 2 shown]
	v_mul_f32_e32 v46, v1, v13
	v_mul_f32_e32 v47, v7, v17
	;; [unrolled: 1-line block ×3, first 2 shown]
	s_waitcnt vmcnt(0)
	v_mul_f32_e32 v49, v10, v40
	v_mul_f32_e32 v21, v3, v21
	;; [unrolled: 1-line block ×8, first 2 shown]
	v_fma_f32 v33, v37, v14, -v33
	v_fma_f32 v8, v8, v18, -v41
	v_fmac_f32_e32 v42, v5, v22
	v_fma_f32 v0, v0, v12, -v46
	v_fma_f32 v5, v6, v16, -v47
	v_fmac_f32_e32 v48, v3, v20
	v_fmac_f32_e32 v49, v11, v39
	v_fma_f32 v2, v2, v20, -v21
	v_fma_f32 v3, v10, v39, -v40
	v_fmac_f32_e32 v13, v1, v12
	v_fmac_f32_e32 v17, v7, v16
	v_fma_f32 v1, v4, v22, -v23
	v_fmac_f32_e32 v15, v38, v14
	v_fmac_f32_e32 v19, v9, v18
	v_sub_f32_e32 v4, v33, v8
	v_sub_f32_e32 v6, v36, v42
	;; [unrolled: 1-line block ×8, first 2 shown]
	v_add_f32_e32 v10, v6, v4
	v_sub_f32_e32 v11, v5, v7
	v_add_f32_e32 v12, v8, v3
	v_fma_f32 v14, v36, 2.0, -v6
	v_sub_f32_e32 v16, v9, v1
	v_fma_f32 v15, v15, 2.0, -v1
	v_fma_f32 v17, v0, 2.0, -v5
	;; [unrolled: 1-line block ×7, first 2 shown]
	v_fmamk_f32 v1, v12, 0x3f3504f3, v10
	v_fmamk_f32 v0, v11, 0x3f3504f3, v16
	v_sub_f32_e32 v13, v14, v15
	v_sub_f32_e32 v15, v17, v2
	v_sub_f32_e32 v19, v18, v3
	v_sub_f32_e32 v7, v4, v7
	v_fma_f32 v6, v6, 2.0, -v10
	v_fma_f32 v20, v5, 2.0, -v11
	;; [unrolled: 1-line block ×4, first 2 shown]
	v_fmac_f32_e32 v1, 0x3f3504f3, v11
	v_fmac_f32_e32 v0, 0xbf3504f3, v12
	v_fma_f32 v12, v14, 2.0, -v13
	v_fma_f32 v8, v4, 2.0, -v7
	;; [unrolled: 1-line block ×4, first 2 shown]
	v_fmamk_f32 v5, v21, 0xbf3504f3, v6
	v_fmamk_f32 v4, v20, 0xbf3504f3, v22
	v_sub_f32_e32 v9, v12, v8
	v_add_f32_e32 v3, v13, v15
	v_sub_f32_e32 v8, v14, v11
	v_fmac_f32_e32 v5, 0x3f3504f3, v20
	v_fmac_f32_e32 v4, 0xbf3504f3, v21
	v_sub_f32_e32 v2, v19, v7
	v_fma_f32 v15, v12, 2.0, -v9
	v_fma_f32 v14, v14, 2.0, -v8
	;; [unrolled: 1-line block ×8, first 2 shown]
	ds_write_b64 v45, v[14:15]
	ds_write_b64 v29, v[12:13] offset:160
	ds_write_b64 v31, v[10:11]
	ds_write2_b64 v29, v[6:7], v[8:9] offset0:44 offset1:56
	ds_write2_b64 v29, v[4:5], v[2:3] offset0:68 offset1:80
	ds_write_b64 v29, v[0:1] offset:736
.LBB0_8:
	s_or_b32 exec_lo, exec_lo, s6
	s_waitcnt lgkmcnt(0)
	s_barrier
	buffer_gl0_inv
	ds_read_b64 v[2:3], v44
	v_sub_nc_u32_e32 v4, v43, v27
	s_mov_b32 s1, exec_lo
                                        ; implicit-def: $vgpr0
                                        ; implicit-def: $vgpr5
                                        ; implicit-def: $vgpr6
	v_cmpx_ne_u32_e32 0, v34
	s_xor_b32 s1, exec_lo, s1
	s_cbranch_execz .LBB0_10
; %bb.9:
	v_mov_b32_e32 v35, 0
	v_lshlrev_b64 v[0:1], 3, v[34:35]
	v_add_co_u32 v0, s0, s8, v0
	v_add_co_ci_u32_e64 v1, s0, s9, v1, s0
	global_load_dwordx2 v[7:8], v[0:1], off offset:752
	ds_read_b64 v[0:1], v4 offset:768
	s_waitcnt lgkmcnt(0)
	v_sub_f32_e32 v5, v2, v0
	v_add_f32_e32 v6, v1, v3
	v_sub_f32_e32 v1, v3, v1
	v_add_f32_e32 v0, v0, v2
	v_mul_f32_e32 v3, 0.5, v5
	v_mul_f32_e32 v2, 0.5, v6
	;; [unrolled: 1-line block ×3, first 2 shown]
	s_waitcnt vmcnt(0)
	v_mul_f32_e32 v6, v8, v3
	v_fma_f32 v9, v2, v8, v1
	v_fma_f32 v1, v2, v8, -v1
	v_fma_f32 v5, 0.5, v0, v6
	v_fma_f32 v0, v0, 0.5, -v6
	v_fma_f32 v6, -v7, v3, v9
	v_fma_f32 v1, -v7, v3, v1
	v_fmac_f32_e32 v5, v7, v2
	v_fma_f32 v0, -v7, v2, v0
                                        ; implicit-def: $vgpr2_vgpr3
.LBB0_10:
	s_andn2_saveexec_b32 s0, s1
	s_cbranch_execz .LBB0_12
; %bb.11:
	ds_read_b32 v1, v43 offset:388
	v_mov_b32_e32 v34, 0
	s_waitcnt lgkmcnt(1)
	v_add_f32_e32 v5, v2, v3
	v_sub_f32_e32 v0, v2, v3
	v_mov_b32_e32 v35, 0
	v_mov_b32_e32 v6, 0
	s_waitcnt lgkmcnt(0)
	v_xor_b32_e32 v2, 0x80000000, v1
	v_mov_b32_e32 v1, 0
	ds_write_b32 v43, v2 offset:388
.LBB0_12:
	s_or_b32 exec_lo, exec_lo, s0
	v_mov_b32_e32 v27, 0
	v_lshlrev_b64 v[13:14], 3, v[34:35]
	s_waitcnt lgkmcnt(0)
	v_lshlrev_b64 v[2:3], 3, v[26:27]
	v_mov_b32_e32 v33, v27
	v_mov_b32_e32 v31, v27
	;; [unrolled: 1-line block ×3, first 2 shown]
	v_lshlrev_b64 v[7:8], 3, v[32:33]
	v_add_co_u32 v2, s0, s8, v2
	v_add_co_ci_u32_e64 v3, s0, s9, v3, s0
	v_lshlrev_b64 v[9:10], 3, v[30:31]
	v_add_co_u32 v7, s0, s8, v7
	global_load_dwordx2 v[2:3], v[2:3], off offset:752
	v_add_co_ci_u32_e64 v8, s0, s9, v8, s0
	v_add_co_u32 v9, s0, s8, v9
	v_add_co_ci_u32_e64 v10, s0, s9, v10, s0
	global_load_dwordx2 v[7:8], v[7:8], off offset:752
	v_lshlrev_b64 v[11:12], 3, v[28:29]
	global_load_dwordx2 v[9:10], v[9:10], off offset:752
	v_add_co_u32 v11, s0, s8, v11
	v_add_co_ci_u32_e64 v12, s0, s9, v12, s0
	s_add_u32 s0, s8, 0x2f0
	s_addc_u32 s1, s9, 0
	v_add_co_u32 v13, s0, s0, v13
	global_load_dwordx2 v[11:12], v[11:12], off offset:752
	v_add_co_ci_u32_e64 v14, s0, s1, v14, s0
	global_load_dwordx2 v[13:14], v[13:14], off offset:320
	ds_write2_b32 v44, v5, v6 offset1:1
	ds_write_b64 v4, v[0:1] offset:768
	ds_read_b64 v[0:1], v45
	ds_read_b64 v[5:6], v4 offset:704
	s_waitcnt lgkmcnt(0)
	v_sub_f32_e32 v15, v0, v5
	v_add_f32_e32 v16, v1, v6
	v_sub_f32_e32 v1, v1, v6
	v_add_f32_e32 v0, v0, v5
	v_mul_f32_e32 v6, 0.5, v15
	v_mul_f32_e32 v15, 0.5, v16
	;; [unrolled: 1-line block ×3, first 2 shown]
	s_waitcnt vmcnt(4)
	v_mul_f32_e32 v5, v3, v6
	v_fma_f32 v16, v15, v3, v1
	v_fma_f32 v1, v15, v3, -v1
	v_fma_f32 v3, 0.5, v0, v5
	v_fma_f32 v0, v0, 0.5, -v5
	v_fma_f32 v5, -v2, v6, v16
	v_fma_f32 v1, -v2, v6, v1
	v_lshl_add_u32 v6, v32, 3, v43
	v_fmac_f32_e32 v3, v2, v15
	v_fma_f32 v0, -v2, v15, v0
	ds_write2_b32 v45, v3, v5 offset1:1
	ds_write_b64 v4, v[0:1] offset:704
	ds_read_b64 v[0:1], v6
	ds_read_b64 v[2:3], v4 offset:640
	s_waitcnt lgkmcnt(0)
	v_sub_f32_e32 v5, v0, v2
	v_add_f32_e32 v15, v1, v3
	v_sub_f32_e32 v1, v1, v3
	v_add_f32_e32 v0, v0, v2
	v_mul_f32_e32 v3, 0.5, v5
	v_mul_f32_e32 v5, 0.5, v15
	;; [unrolled: 1-line block ×3, first 2 shown]
	s_waitcnt vmcnt(3)
	v_mul_f32_e32 v2, v8, v3
	v_fma_f32 v15, v5, v8, v1
	v_fma_f32 v1, v5, v8, -v1
	v_fma_f32 v8, 0.5, v0, v2
	v_fma_f32 v0, v0, 0.5, -v2
	v_fma_f32 v2, -v7, v3, v15
	v_fma_f32 v1, -v7, v3, v1
	v_fmac_f32_e32 v8, v7, v5
	v_fma_f32 v0, -v7, v5, v0
	v_lshl_add_u32 v5, v30, 3, v43
	ds_write2_b32 v6, v8, v2 offset1:1
	ds_write_b64 v4, v[0:1] offset:640
	ds_read_b64 v[0:1], v5
	ds_read_b64 v[2:3], v4 offset:576
	s_waitcnt lgkmcnt(0)
	v_sub_f32_e32 v6, v0, v2
	v_add_f32_e32 v7, v1, v3
	v_sub_f32_e32 v1, v1, v3
	v_add_f32_e32 v0, v0, v2
	v_mul_f32_e32 v3, 0.5, v6
	v_mul_f32_e32 v6, 0.5, v7
	;; [unrolled: 1-line block ×3, first 2 shown]
	s_waitcnt vmcnt(2)
	v_mul_f32_e32 v2, v10, v3
	v_fma_f32 v7, v6, v10, v1
	v_fma_f32 v1, v6, v10, -v1
	v_fma_f32 v8, 0.5, v0, v2
	v_fma_f32 v0, v0, 0.5, -v2
	v_fma_f32 v2, -v9, v3, v7
	v_fma_f32 v1, -v9, v3, v1
	v_fmac_f32_e32 v8, v9, v6
	v_fma_f32 v0, -v9, v6, v0
	v_lshl_add_u32 v6, v28, 3, v43
	ds_write2_b32 v5, v8, v2 offset1:1
	ds_write_b64 v4, v[0:1] offset:576
	ds_read_b64 v[0:1], v6
	ds_read_b64 v[2:3], v4 offset:512
	s_waitcnt lgkmcnt(0)
	v_sub_f32_e32 v5, v0, v2
	v_add_f32_e32 v7, v1, v3
	v_sub_f32_e32 v1, v1, v3
	v_add_f32_e32 v0, v0, v2
	v_mul_f32_e32 v3, 0.5, v5
	v_mul_f32_e32 v5, 0.5, v7
	;; [unrolled: 1-line block ×3, first 2 shown]
	s_waitcnt vmcnt(1)
	v_mul_f32_e32 v2, v12, v3
	v_fma_f32 v7, v5, v12, v1
	v_fma_f32 v1, v5, v12, -v1
	v_fma_f32 v8, 0.5, v0, v2
	v_fma_f32 v0, v0, 0.5, -v2
	v_fma_f32 v2, -v11, v3, v7
	v_fma_f32 v1, -v11, v3, v1
	v_fmac_f32_e32 v8, v11, v5
	v_fma_f32 v0, -v11, v5, v0
	ds_write2_b32 v6, v8, v2 offset1:1
	ds_write_b64 v4, v[0:1] offset:512
	ds_read_b64 v[0:1], v44 offset:320
	ds_read_b64 v[2:3], v4 offset:448
	s_waitcnt lgkmcnt(0)
	v_sub_f32_e32 v5, v0, v2
	v_add_f32_e32 v6, v1, v3
	v_sub_f32_e32 v1, v1, v3
	v_add_f32_e32 v0, v0, v2
	v_mul_f32_e32 v3, 0.5, v5
	v_mul_f32_e32 v5, 0.5, v6
	;; [unrolled: 1-line block ×3, first 2 shown]
	s_waitcnt vmcnt(0)
	v_mul_f32_e32 v2, v14, v3
	v_fma_f32 v6, v5, v14, v1
	v_fma_f32 v1, v5, v14, -v1
	v_fma_f32 v7, 0.5, v0, v2
	v_fma_f32 v0, v0, 0.5, -v2
	v_fma_f32 v2, -v13, v3, v6
	v_fma_f32 v1, -v13, v3, v1
	v_fmac_f32_e32 v7, v13, v5
	v_fma_f32 v0, -v13, v5, v0
	ds_write2_b32 v44, v7, v2 offset0:80 offset1:81
	ds_write_b64 v4, v[0:1] offset:448
	s_waitcnt lgkmcnt(0)
	s_barrier
	buffer_gl0_inv
	s_and_saveexec_b32 s0, vcc_lo
	s_cbranch_execz .LBB0_15
; %bb.13:
	v_mad_u64_u32 v[0:1], null, s2, v25, 0
	s_load_dwordx2 s[0:1], s[4:5], 0x58
	v_add_nc_u32_e32 v26, 8, v24
	v_lshlrev_b64 v[15:16], 3, v[26:27]
	v_mad_u64_u32 v[1:2], null, s3, v25, v[1:2]
	v_lshl_add_u32 v2, v24, 3, v43
	v_mov_b32_e32 v25, v27
	v_add_nc_u32_e32 v26, 16, v24
	ds_read2_b64 v[3:6], v2 offset1:8
	v_lshlrev_b64 v[0:1], 3, v[0:1]
	v_lshlrev_b64 v[19:20], 3, v[24:25]
	;; [unrolled: 1-line block ×3, first 2 shown]
	v_add_nc_u32_e32 v26, 24, v24
	ds_read2_b64 v[7:10], v2 offset0:16 offset1:24
	ds_read2_b64 v[11:14], v2 offset0:32 offset1:40
	s_waitcnt lgkmcnt(0)
	v_add_co_u32 v0, vcc_lo, s0, v0
	v_add_co_ci_u32_e32 v1, vcc_lo, s1, v1, vcc_lo
	v_lshlrev_b64 v[21:22], 3, v[26:27]
	v_add_co_u32 v19, vcc_lo, v0, v19
	v_add_nc_u32_e32 v26, 32, v24
	v_add_co_ci_u32_e32 v20, vcc_lo, v1, v20, vcc_lo
	v_add_co_u32 v15, vcc_lo, v0, v15
	v_add_co_ci_u32_e32 v16, vcc_lo, v1, v16, vcc_lo
	v_lshlrev_b64 v[28:29], 3, v[26:27]
	v_add_co_u32 v17, vcc_lo, v0, v17
	v_add_co_ci_u32_e32 v18, vcc_lo, v1, v18, vcc_lo
	global_store_dwordx2 v[19:20], v[3:4], off
	global_store_dwordx2 v[15:16], v[5:6], off
	v_add_co_u32 v3, vcc_lo, v0, v21
	v_add_co_ci_u32_e32 v4, vcc_lo, v1, v22, vcc_lo
	v_add_nc_u32_e32 v26, 40, v24
	v_add_co_u32 v5, vcc_lo, v0, v28
	v_add_co_ci_u32_e32 v6, vcc_lo, v1, v29, vcc_lo
	v_lshlrev_b64 v[15:16], 3, v[26:27]
	v_add_nc_u32_e32 v26, 48, v24
	global_store_dwordx2 v[17:18], v[7:8], off
	global_store_dwordx2 v[3:4], v[9:10], off
	;; [unrolled: 1-line block ×3, first 2 shown]
	ds_read2_b64 v[3:6], v2 offset0:48 offset1:56
	v_lshlrev_b64 v[7:8], 3, v[26:27]
	v_add_nc_u32_e32 v26, 56, v24
	v_add_co_u32 v9, vcc_lo, v0, v15
	v_add_co_ci_u32_e32 v10, vcc_lo, v1, v16, vcc_lo
	v_lshlrev_b64 v[11:12], 3, v[26:27]
	v_add_nc_u32_e32 v26, 64, v24
	v_add_co_u32 v7, vcc_lo, v0, v7
	v_add_co_ci_u32_e32 v8, vcc_lo, v1, v8, vcc_lo
	v_add_co_u32 v11, vcc_lo, v0, v11
	v_lshlrev_b64 v[15:16], 3, v[26:27]
	v_add_nc_u32_e32 v26, 0x48, v24
	v_add_co_ci_u32_e32 v12, vcc_lo, v1, v12, vcc_lo
	global_store_dwordx2 v[9:10], v[13:14], off
	s_waitcnt lgkmcnt(0)
	global_store_dwordx2 v[7:8], v[3:4], off
	global_store_dwordx2 v[11:12], v[5:6], off
	v_lshlrev_b64 v[11:12], 3, v[26:27]
	v_add_nc_u32_e32 v26, 0x50, v24
	v_add_co_u32 v13, vcc_lo, v0, v15
	ds_read2_b64 v[3:6], v2 offset0:64 offset1:72
	v_add_co_ci_u32_e32 v14, vcc_lo, v1, v16, vcc_lo
	v_lshlrev_b64 v[15:16], 3, v[26:27]
	v_add_nc_u32_e32 v26, 0x58, v24
	ds_read2_b64 v[7:10], v2 offset0:80 offset1:88
	v_add_co_u32 v11, vcc_lo, v0, v11
	v_add_co_ci_u32_e32 v12, vcc_lo, v1, v12, vcc_lo
	v_lshlrev_b64 v[17:18], 3, v[26:27]
	v_add_co_u32 v15, vcc_lo, v0, v15
	v_add_co_ci_u32_e32 v16, vcc_lo, v1, v16, vcc_lo
	v_add_co_u32 v17, vcc_lo, v0, v17
	v_add_co_ci_u32_e32 v18, vcc_lo, v1, v18, vcc_lo
	v_cmp_eq_u32_e32 vcc_lo, 7, v24
	s_waitcnt lgkmcnt(1)
	global_store_dwordx2 v[13:14], v[3:4], off
	global_store_dwordx2 v[11:12], v[5:6], off
	s_waitcnt lgkmcnt(0)
	global_store_dwordx2 v[15:16], v[7:8], off
	global_store_dwordx2 v[17:18], v[9:10], off
	s_and_b32 exec_lo, exec_lo, vcc_lo
	s_cbranch_execz .LBB0_15
; %bb.14:
	ds_read_b64 v[2:3], v2 offset:712
	s_waitcnt lgkmcnt(0)
	global_store_dwordx2 v[0:1], v[2:3], off offset:768
.LBB0_15:
	s_endpgm
	.section	.rodata,"a",@progbits
	.p2align	6, 0x0
	.amdhsa_kernel fft_rtc_fwd_len96_factors_2_6_8_wgs_64_tpt_8_halfLds_dim1_sp_op_CI_CI_unitstride_sbrr_R2C_dirReg
		.amdhsa_group_segment_fixed_size 0
		.amdhsa_private_segment_fixed_size 0
		.amdhsa_kernarg_size 96
		.amdhsa_user_sgpr_count 6
		.amdhsa_user_sgpr_private_segment_buffer 1
		.amdhsa_user_sgpr_dispatch_ptr 0
		.amdhsa_user_sgpr_queue_ptr 0
		.amdhsa_user_sgpr_kernarg_segment_ptr 1
		.amdhsa_user_sgpr_dispatch_id 0
		.amdhsa_user_sgpr_flat_scratch_init 0
		.amdhsa_user_sgpr_private_segment_size 0
		.amdhsa_wavefront_size32 1
		.amdhsa_uses_dynamic_stack 0
		.amdhsa_system_sgpr_private_segment_wavefront_offset 0
		.amdhsa_system_sgpr_workgroup_id_x 1
		.amdhsa_system_sgpr_workgroup_id_y 0
		.amdhsa_system_sgpr_workgroup_id_z 0
		.amdhsa_system_sgpr_workgroup_info 0
		.amdhsa_system_vgpr_workitem_id 0
		.amdhsa_next_free_vgpr 66
		.amdhsa_next_free_sgpr 12
		.amdhsa_reserve_vcc 1
		.amdhsa_reserve_flat_scratch 0
		.amdhsa_float_round_mode_32 0
		.amdhsa_float_round_mode_16_64 0
		.amdhsa_float_denorm_mode_32 3
		.amdhsa_float_denorm_mode_16_64 3
		.amdhsa_dx10_clamp 1
		.amdhsa_ieee_mode 1
		.amdhsa_fp16_overflow 0
		.amdhsa_workgroup_processor_mode 1
		.amdhsa_memory_ordered 1
		.amdhsa_forward_progress 0
		.amdhsa_shared_vgpr_count 0
		.amdhsa_exception_fp_ieee_invalid_op 0
		.amdhsa_exception_fp_denorm_src 0
		.amdhsa_exception_fp_ieee_div_zero 0
		.amdhsa_exception_fp_ieee_overflow 0
		.amdhsa_exception_fp_ieee_underflow 0
		.amdhsa_exception_fp_ieee_inexact 0
		.amdhsa_exception_int_div_zero 0
	.end_amdhsa_kernel
	.text
.Lfunc_end0:
	.size	fft_rtc_fwd_len96_factors_2_6_8_wgs_64_tpt_8_halfLds_dim1_sp_op_CI_CI_unitstride_sbrr_R2C_dirReg, .Lfunc_end0-fft_rtc_fwd_len96_factors_2_6_8_wgs_64_tpt_8_halfLds_dim1_sp_op_CI_CI_unitstride_sbrr_R2C_dirReg
                                        ; -- End function
	.section	.AMDGPU.csdata,"",@progbits
; Kernel info:
; codeLenInByte = 4764
; NumSgprs: 14
; NumVgprs: 66
; ScratchSize: 0
; MemoryBound: 0
; FloatMode: 240
; IeeeMode: 1
; LDSByteSize: 0 bytes/workgroup (compile time only)
; SGPRBlocks: 1
; VGPRBlocks: 8
; NumSGPRsForWavesPerEU: 14
; NumVGPRsForWavesPerEU: 66
; Occupancy: 12
; WaveLimiterHint : 1
; COMPUTE_PGM_RSRC2:SCRATCH_EN: 0
; COMPUTE_PGM_RSRC2:USER_SGPR: 6
; COMPUTE_PGM_RSRC2:TRAP_HANDLER: 0
; COMPUTE_PGM_RSRC2:TGID_X_EN: 1
; COMPUTE_PGM_RSRC2:TGID_Y_EN: 0
; COMPUTE_PGM_RSRC2:TGID_Z_EN: 0
; COMPUTE_PGM_RSRC2:TIDIG_COMP_CNT: 0
	.text
	.p2alignl 6, 3214868480
	.fill 48, 4, 3214868480
	.type	__hip_cuid_97ec6b17579aafbb,@object ; @__hip_cuid_97ec6b17579aafbb
	.section	.bss,"aw",@nobits
	.globl	__hip_cuid_97ec6b17579aafbb
__hip_cuid_97ec6b17579aafbb:
	.byte	0                               ; 0x0
	.size	__hip_cuid_97ec6b17579aafbb, 1

	.ident	"AMD clang version 19.0.0git (https://github.com/RadeonOpenCompute/llvm-project roc-6.4.0 25133 c7fe45cf4b819c5991fe208aaa96edf142730f1d)"
	.section	".note.GNU-stack","",@progbits
	.addrsig
	.addrsig_sym __hip_cuid_97ec6b17579aafbb
	.amdgpu_metadata
---
amdhsa.kernels:
  - .args:
      - .actual_access:  read_only
        .address_space:  global
        .offset:         0
        .size:           8
        .value_kind:     global_buffer
      - .actual_access:  read_only
        .address_space:  global
        .offset:         8
        .size:           8
        .value_kind:     global_buffer
      - .actual_access:  read_only
        .address_space:  global
        .offset:         16
        .size:           8
        .value_kind:     global_buffer
      - .actual_access:  read_only
        .address_space:  global
        .offset:         24
        .size:           8
        .value_kind:     global_buffer
      - .offset:         32
        .size:           8
        .value_kind:     by_value
      - .actual_access:  read_only
        .address_space:  global
        .offset:         40
        .size:           8
        .value_kind:     global_buffer
      - .actual_access:  read_only
        .address_space:  global
        .offset:         48
        .size:           8
        .value_kind:     global_buffer
      - .offset:         56
        .size:           4
        .value_kind:     by_value
      - .actual_access:  read_only
        .address_space:  global
        .offset:         64
        .size:           8
        .value_kind:     global_buffer
      - .actual_access:  read_only
        .address_space:  global
        .offset:         72
        .size:           8
        .value_kind:     global_buffer
      - .actual_access:  read_only
        .address_space:  global
        .offset:         80
        .size:           8
        .value_kind:     global_buffer
      - .actual_access:  write_only
        .address_space:  global
        .offset:         88
        .size:           8
        .value_kind:     global_buffer
    .group_segment_fixed_size: 0
    .kernarg_segment_align: 8
    .kernarg_segment_size: 96
    .language:       OpenCL C
    .language_version:
      - 2
      - 0
    .max_flat_workgroup_size: 64
    .name:           fft_rtc_fwd_len96_factors_2_6_8_wgs_64_tpt_8_halfLds_dim1_sp_op_CI_CI_unitstride_sbrr_R2C_dirReg
    .private_segment_fixed_size: 0
    .sgpr_count:     14
    .sgpr_spill_count: 0
    .symbol:         fft_rtc_fwd_len96_factors_2_6_8_wgs_64_tpt_8_halfLds_dim1_sp_op_CI_CI_unitstride_sbrr_R2C_dirReg.kd
    .uniform_work_group_size: 1
    .uses_dynamic_stack: false
    .vgpr_count:     66
    .vgpr_spill_count: 0
    .wavefront_size: 32
    .workgroup_processor_mode: 1
amdhsa.target:   amdgcn-amd-amdhsa--gfx1030
amdhsa.version:
  - 1
  - 2
...

	.end_amdgpu_metadata
